;; amdgpu-corpus repo=ROCm/rocFFT kind=compiled arch=gfx1030 opt=O3
	.text
	.amdgcn_target "amdgcn-amd-amdhsa--gfx1030"
	.amdhsa_code_object_version 6
	.protected	fft_rtc_back_len100_factors_10_5_2_wgs_200_tpt_10_dim2_dp_op_CI_CI_sbrc_aligned_dirReg ; -- Begin function fft_rtc_back_len100_factors_10_5_2_wgs_200_tpt_10_dim2_dp_op_CI_CI_sbrc_aligned_dirReg
	.globl	fft_rtc_back_len100_factors_10_5_2_wgs_200_tpt_10_dim2_dp_op_CI_CI_sbrc_aligned_dirReg
	.p2align	8
	.type	fft_rtc_back_len100_factors_10_5_2_wgs_200_tpt_10_dim2_dp_op_CI_CI_sbrc_aligned_dirReg,@function
fft_rtc_back_len100_factors_10_5_2_wgs_200_tpt_10_dim2_dp_op_CI_CI_sbrc_aligned_dirReg: ; @fft_rtc_back_len100_factors_10_5_2_wgs_200_tpt_10_dim2_dp_op_CI_CI_sbrc_aligned_dirReg
; %bb.0:
	s_load_dwordx8 s[8:15], s[4:5], 0x0
	v_mul_u32_u24_e32 v2, 0x290, v0
	s_mov_b32 s7, 0
	v_mov_b32_e32 v25, 0
	s_mov_b32 s24, 0x9b97f4a8
	s_mov_b32 s25, 0x3fe9e377
	v_lshrrev_b32_e32 v46, 16, v2
	s_mov_b32 s23, 0xbfe9e377
	s_mov_b32 s22, s24
	v_mov_b32_e32 v93, v25
	v_mul_lo_u16 v2, 0x64, v46
	v_sub_nc_u16 v47, v0, v2
	s_waitcnt lgkmcnt(0)
	s_load_dword s0, s[10:11], 0x8
	s_load_dwordx4 s[16:19], s[12:13], 0x0
	v_and_b32_e32 v3, 0xffff, v47
	s_load_dwordx2 s[12:13], s[12:13], 0x10
	s_load_dwordx2 s[10:11], s[14:15], 0x10
	v_mul_lo_u16 v47, v47, 20
	s_waitcnt lgkmcnt(0)
	s_add_i32 s0, s0, -1
	v_mul_lo_u32 v24, s18, v46
	s_mul_hi_u32 s0, s0, 0xcccccccd
	v_lshlrev_b32_e32 v46, 4, v46
	s_lshr_b32 s0, s0, 4
	s_add_i32 s20, s0, 1
	s_not_b32 s0, s0
	v_cvt_f32_u32_e32 v1, s20
	v_rcp_iflag_f32_e32 v1, v1
	v_mul_f32_e32 v1, 0x4f7ffffe, v1
	v_cvt_u32_f32_e32 v1, v1
	v_readfirstlane_b32 s1, v1
	v_mad_u64_u32 v[1:2], null, s16, v3, 0
	s_mul_i32 s0, s0, s1
	s_mul_hi_u32 s0, s1, s0
	v_mad_u64_u32 v[2:3], null, s17, v3, v[2:3]
	s_add_i32 s1, s1, s0
	v_lshlrev_b64 v[3:4], 4, v[24:25]
	s_mul_hi_u32 s16, s6, s1
	s_mul_i32 s0, s16, s20
	s_add_i32 s19, s16, 1
	s_sub_i32 s17, s6, s0
	s_load_dwordx4 s[0:3], s[4:5], 0x50
	s_sub_i32 s21, s17, s20
	s_cmp_ge_u32 s17, s20
	v_lshlrev_b64 v[1:2], 4, v[1:2]
	s_cselect_b32 s4, s19, s16
	s_cselect_b32 s5, s21, s17
	s_add_i32 s16, s4, 1
	s_cmp_ge_u32 s5, s20
	s_mov_b32 s19, 0x3fe2cf23
	s_cselect_b32 s26, s16, s4
	s_mov_b32 s21, 0xbfd3c6ef
	s_mul_i32 s5, s26, s20
	s_mul_i32 s13, s13, s26
	s_mul_hi_u32 s16, s12, s26
	s_sub_i32 s27, s6, s5
	s_mul_i32 s4, s12, s26
	s_add_i32 s5, s16, s13
	s_mul_i32 s11, s11, s26
	s_mul_hi_u32 s12, s10, s26
	s_mul_i32 s27, s27, 20
	s_lshl_b64 s[4:5], s[4:5], 4
	s_add_i32 s11, s12, s11
	s_mul_i32 s6, s27, s18
	s_waitcnt lgkmcnt(0)
	s_add_u32 s4, s0, s4
	s_addc_u32 s5, s1, s5
	s_lshl_b64 s[0:1], s[6:7], 4
	s_mov_b32 s13, 0x3fee6f0e
	s_add_u32 s0, s4, s0
	s_addc_u32 s1, s5, s1
	s_lshl_b32 s4, s18, 1
	v_add_co_u32 v23, vcc_lo, s0, v1
	v_add_nc_u32_e32 v24, s4, v24
	v_add_co_ci_u32_e32 v30, vcc_lo, s1, v2, vcc_lo
	v_add_co_u32 v3, vcc_lo, v23, v3
	v_lshlrev_b64 v[1:2], 4, v[24:25]
	v_add_nc_u32_e32 v24, s4, v24
	v_add_co_ci_u32_e32 v4, vcc_lo, v30, v4, vcc_lo
	s_mov_b32 s0, 0x134454ff
	s_mov_b32 s1, 0xbfee6f0e
	v_lshlrev_b64 v[5:6], 4, v[24:25]
	v_add_nc_u32_e32 v24, s4, v24
	v_add_co_u32 v7, vcc_lo, v23, v1
	v_add_co_ci_u32_e32 v8, vcc_lo, v30, v2, vcc_lo
	v_lshlrev_b64 v[1:2], 4, v[24:25]
	v_add_nc_u32_e32 v24, s4, v24
	v_add_co_u32 v9, vcc_lo, v23, v5
	v_add_co_ci_u32_e32 v10, vcc_lo, v30, v6, vcc_lo
	;; [unrolled: 4-line block ×7, first 2 shown]
	v_lshlrev_b64 v[19:20], 4, v[24:25]
	v_add_co_u32 v38, vcc_lo, v23, v21
	v_add_co_ci_u32_e32 v39, vcc_lo, v30, v22, vcc_lo
	s_clause 0x1
	global_load_dwordx4 v[1:4], v[3:4], off
	global_load_dwordx4 v[5:8], v[7:8], off
	v_add_co_u32 v42, vcc_lo, v23, v19
	v_add_co_ci_u32_e32 v43, vcc_lo, v30, v20, vcc_lo
	s_clause 0x7
	global_load_dwordx4 v[9:12], v[9:10], off
	global_load_dwordx4 v[13:16], v[13:14], off
	;; [unrolled: 1-line block ×8, first 2 shown]
	v_mul_u32_u24_e32 v26, 0xccd, v0
	v_mov_b32_e32 v27, 4
	s_load_dwordx4 s[4:7], s[14:15], 0x0
	s_mov_b32 s12, s0
	s_mov_b32 s16, 0x4755a5e
	v_lshrrev_b32_e32 v29, 16, v26
	s_mov_b32 s17, 0xbfe2cf23
	s_mov_b32 s18, s16
	;; [unrolled: 1-line block ×4, first 2 shown]
	v_mul_lo_u16 v26, v29, 20
	s_mov_b32 s20, s14
	v_mul_lo_u16 v90, v29, 26
	v_cmp_gt_u32_e32 vcc_lo, 0x320, v0
	v_add_nc_u32_e32 v95, 40, v29
	v_sub_nc_u16 v26, v0, v26
	s_mul_i32 s10, s10, s26
	v_and_b32_e32 v28, 0xffff, v26
	v_lshlrev_b32_sdwa v26, v27, v47 dst_sel:DWORD dst_unused:UNUSED_PAD src0_sel:DWORD src1_sel:WORD_0
	v_mul_u32_u24_e32 v47, 0x140, v29
	v_lshlrev_b32_e32 v27, 4, v28
	v_add3_u32 v48, 0, v26, v46
	v_add3_u32 v46, 0, v46, v26
	s_waitcnt vmcnt(9)
	ds_write_b128 v48, v[1:4]
	s_waitcnt vmcnt(8)
	ds_write_b128 v46, v[5:8] offset:32
	s_waitcnt vmcnt(7)
	ds_write_b128 v46, v[9:12] offset:64
	s_waitcnt vmcnt(6)
	ds_write_b128 v46, v[13:16] offset:96
	s_waitcnt vmcnt(5)
	ds_write_b128 v46, v[17:20] offset:128
	s_waitcnt vmcnt(4)
	ds_write_b128 v46, v[21:24] offset:160
	s_waitcnt vmcnt(3)
	ds_write_b128 v46, v[30:33] offset:192
	s_waitcnt vmcnt(2)
	ds_write_b128 v46, v[34:37] offset:224
	s_waitcnt vmcnt(1)
	ds_write_b128 v46, v[38:41] offset:256
	s_waitcnt vmcnt(0)
	ds_write_b128 v46, v[42:45] offset:288
	v_add3_u32 v26, 0, v47, v27
	s_waitcnt lgkmcnt(0)
	s_barrier
	buffer_gl0_inv
	ds_read_b128 v[17:20], v26 offset:9600
	ds_read_b128 v[1:4], v26 offset:28800
	;; [unrolled: 1-line block ×8, first 2 shown]
	ds_read_b128 v[38:41], v26
	ds_read_b128 v[42:45], v26 offset:3200
	s_waitcnt lgkmcnt(0)
	s_barrier
	buffer_gl0_inv
	v_add_f64 v[46:47], v[19:20], v[3:4]
	v_add_f64 v[64:65], v[17:18], v[1:2]
	;; [unrolled: 1-line block ×4, first 2 shown]
	v_add_f64 v[72:73], v[21:22], -v[9:10]
	v_add_f64 v[52:53], v[34:35], v[13:14]
	v_add_f64 v[54:55], v[30:31], v[5:6]
	;; [unrolled: 1-line block ×7, first 2 shown]
	v_add_f64 v[82:83], v[17:18], -v[1:2]
	v_add_f64 v[84:85], v[19:20], -v[3:4]
	v_add_f64 v[60:61], v[38:39], v[30:31]
	v_add_f64 v[66:67], v[32:33], -v[7:8]
	v_add_f64 v[74:75], v[32:33], -v[36:37]
	;; [unrolled: 1-line block ×7, first 2 shown]
	v_fma_f64 v[46:47], v[46:47], -0.5, v[44:45]
	v_add_f64 v[70:71], v[34:35], -v[30:31]
	v_fma_f64 v[44:45], v[48:49], -0.5, v[44:45]
	v_fma_f64 v[50:51], v[50:51], -0.5, v[42:43]
	v_add_f64 v[48:49], v[1:2], -v[9:10]
	v_fma_f64 v[52:53], v[52:53], -0.5, v[38:39]
	v_fma_f64 v[38:39], v[54:55], -0.5, v[38:39]
	;; [unrolled: 1-line block ×4, first 2 shown]
	v_add_f64 v[56:57], v[19:20], -v[23:24]
	v_add_f64 v[58:59], v[3:4], -v[11:12]
	v_fma_f64 v[42:43], v[64:65], -0.5, v[42:43]
	v_add_f64 v[19:20], v[23:24], -v[19:20]
	v_add_f64 v[64:65], v[11:12], -v[3:4]
	v_add_f64 v[21:22], v[76:77], v[21:22]
	v_add_f64 v[23:24], v[78:79], v[23:24]
	v_add_f64 v[76:77], v[36:37], -v[15:16]
	v_add_f64 v[36:37], v[62:63], v[36:37]
	v_add_f64 v[30:31], v[30:31], -v[5:6]
	;; [unrolled: 2-line block ×3, first 2 shown]
	v_fma_f64 v[88:89], v[72:73], s[0:1], v[46:47]
	v_fma_f64 v[46:47], v[72:73], s[12:13], v[46:47]
	;; [unrolled: 1-line block ×5, first 2 shown]
	v_add_f64 v[48:49], v[80:81], v[48:49]
	v_add_f64 v[80:81], v[5:6], -v[13:14]
	v_fma_f64 v[50:51], v[84:85], s[12:13], v[50:51]
	v_add_f64 v[56:57], v[56:57], v[58:59]
	v_add_f64 v[58:59], v[13:14], -v[5:6]
	v_add_f64 v[19:20], v[19:20], v[64:65]
	v_add_f64 v[64:65], v[9:10], -v[1:2]
	v_add_f64 v[9:10], v[21:22], v[9:10]
	v_add_f64 v[11:12], v[23:24], v[11:12]
	;; [unrolled: 1-line block ×3, first 2 shown]
	v_fma_f64 v[88:89], v[82:83], s[18:19], v[88:89]
	v_fma_f64 v[46:47], v[82:83], s[16:17], v[46:47]
	;; [unrolled: 1-line block ×7, first 2 shown]
	v_add_f64 v[68:69], v[68:69], v[80:81]
	v_add_f64 v[80:81], v[7:8], -v[15:16]
	v_add_f64 v[72:73], v[15:16], -v[7:8]
	v_fma_f64 v[50:51], v[86:87], s[18:19], v[50:51]
	v_add_f64 v[58:59], v[70:71], v[58:59]
	v_fma_f64 v[70:71], v[76:77], s[12:13], v[38:39]
	v_fma_f64 v[38:39], v[76:77], s[0:1], v[38:39]
	v_add_f64 v[17:18], v[17:18], v[64:65]
	v_fma_f64 v[64:65], v[66:67], s[0:1], v[52:53]
	v_fma_f64 v[52:53], v[66:67], s[12:13], v[52:53]
	v_add_f64 v[15:16], v[36:37], v[15:16]
	v_add_f64 v[9:10], v[9:10], v[1:2]
	;; [unrolled: 1-line block ×4, first 2 shown]
	v_fma_f64 v[88:89], v[19:20], s[14:15], v[88:89]
	v_fma_f64 v[19:20], v[19:20], s[14:15], v[46:47]
	;; [unrolled: 1-line block ×11, first 2 shown]
	v_add_f64 v[74:75], v[74:75], v[80:81]
	v_fma_f64 v[36:37], v[66:67], s[16:17], v[70:71]
	v_fma_f64 v[38:39], v[66:67], s[18:19], v[38:39]
	v_add_f64 v[32:33], v[32:33], v[72:73]
	v_fma_f64 v[21:22], v[76:77], s[16:17], v[64:65]
	v_fma_f64 v[23:24], v[76:77], s[18:19], v[52:53]
	v_add_f64 v[7:8], v[15:16], v[7:8]
	v_mul_f64 v[64:65], v[88:89], s[0:1]
	v_mul_f64 v[70:71], v[88:89], s[14:15]
	v_fma_f64 v[56:57], v[17:18], s[14:15], v[82:83]
	v_fma_f64 v[17:18], v[17:18], s[14:15], v[42:43]
	;; [unrolled: 1-line block ×3, first 2 shown]
	v_mul_f64 v[60:61], v[78:79], s[16:17]
	v_mul_f64 v[66:67], v[46:47], s[18:19]
	v_fma_f64 v[62:63], v[30:31], s[18:19], v[62:63]
	v_mul_f64 v[42:43], v[19:20], s[0:1]
	v_fma_f64 v[30:31], v[30:31], s[16:17], v[40:41]
	;; [unrolled: 2-line block ×3, first 2 shown]
	v_fma_f64 v[40:41], v[48:49], s[14:15], v[50:51]
	v_mul_f64 v[48:49], v[44:45], s[16:17]
	v_mul_f64 v[44:45], v[44:45], s[22:23]
	v_fma_f64 v[15:16], v[68:69], s[14:15], v[21:22]
	v_fma_f64 v[50:51], v[68:69], s[14:15], v[23:24]
	;; [unrolled: 1-line block ×4, first 2 shown]
	v_lshrrev_b16 v34, 8, v90
	v_add_f64 v[3:4], v[7:8], v[11:12]
	v_add_f64 v[7:8], v[7:8], -v[11:12]
	v_mul_lo_u16 v1, v34, 10
	v_and_b32_e32 v34, 0xffff, v34
	v_fma_f64 v[21:22], v[74:75], s[14:15], v[52:53]
	v_fma_f64 v[35:36], v[46:47], s[24:25], v[60:61]
	;; [unrolled: 1-line block ×12, first 2 shown]
	v_sub_nc_u16 v66, v29, v1
	v_add_f64 v[1:2], v[5:6], v[9:10]
	v_add_f64 v[5:6], v[5:6], -v[9:10]
	v_add_f64 v[9:10], v[15:16], v[35:36]
	v_add_f64 v[11:12], v[21:22], v[52:53]
	;; [unrolled: 1-line block ×3, first 2 shown]
	v_add_f64 v[17:18], v[15:16], -v[35:36]
	v_add_f64 v[15:16], v[37:38], v[56:57]
	v_add_f64 v[19:20], v[21:22], -v[52:53]
	v_add_f64 v[21:22], v[58:59], v[42:43]
	;; [unrolled: 2-line block ×4, first 2 shown]
	v_add_f64 v[38:39], v[54:55], v[64:65]
	v_add_f64 v[40:41], v[58:59], -v[42:43]
	v_add_f64 v[42:43], v[60:61], -v[62:63]
	;; [unrolled: 1-line block ×4, first 2 shown]
	v_and_b32_e32 v35, 0xff, v66
	v_mad_u32_u24 v48, 0xb40, v29, v26
	ds_write_b128 v48, v[1:4]
	ds_write_b128 v48, v[5:8] offset:1600
	ds_write_b128 v48, v[9:12] offset:320
	;; [unrolled: 1-line block ×9, first 2 shown]
	v_lshlrev_b32_e32 v50, 6, v35
	s_waitcnt lgkmcnt(0)
	s_barrier
	buffer_gl0_inv
	v_add_nc_u32_e32 v30, 10, v29
	s_clause 0x3
	global_load_dwordx4 v[38:41], v50, s[8:9]
	global_load_dwordx4 v[42:45], v50, s[8:9] offset:16
	global_load_dwordx4 v[46:49], v50, s[8:9] offset:32
	;; [unrolled: 1-line block ×3, first 2 shown]
	v_mul_lo_u16 v1, 0x67, v30
	v_add_nc_u32_e32 v32, 20, v29
	v_mad_u32_u24 v34, v34, 50, v35
	v_lshrrev_b16 v36, 10, v1
	v_mul_u32_u24_e32 v17, 0x140, v32
	v_mul_lo_u16 v1, v36, 10
	v_add3_u32 v31, 0, v17, v27
	v_and_b32_e32 v36, 0xffff, v36
	v_sub_nc_u16 v1, v30, v1
	v_add_nc_u32_e32 v33, 0xfffff380, v31
	v_and_b32_e32 v37, 0xff, v1
	v_lshlrev_b32_e32 v13, 6, v37
	s_clause 0x3
	global_load_dwordx4 v[1:4], v13, s[8:9]
	global_load_dwordx4 v[5:8], v13, s[8:9] offset:16
	global_load_dwordx4 v[9:12], v13, s[8:9] offset:32
	;; [unrolled: 1-line block ×3, first 2 shown]
	ds_read_b128 v[54:57], v31
	ds_read_b128 v[58:61], v31 offset:6400
	ds_read_b128 v[62:65], v26 offset:19200
	;; [unrolled: 1-line block ×4, first 2 shown]
	ds_read_b128 v[21:24], v33
	ds_read_b128 v[70:73], v26 offset:9600
	ds_read_b128 v[74:77], v26 offset:16000
	s_waitcnt vmcnt(7) lgkmcnt(7)
	v_mul_f64 v[78:79], v[56:57], v[40:41]
	v_mul_f64 v[40:41], v[54:55], v[40:41]
	s_waitcnt vmcnt(6) lgkmcnt(6)
	v_mul_f64 v[80:81], v[60:61], v[44:45]
	v_mul_f64 v[44:45], v[58:59], v[44:45]
	;; [unrolled: 3-line block ×3, first 2 shown]
	v_fma_f64 v[54:55], v[54:55], v[38:39], v[78:79]
	v_fma_f64 v[56:57], v[56:57], v[38:39], -v[40:41]
	s_waitcnt vmcnt(4) lgkmcnt(3)
	v_mul_f64 v[78:79], v[68:69], v[52:53]
	v_mul_f64 v[52:53], v[66:67], v[52:53]
	ds_read_b128 v[38:41], v26 offset:22400
	v_fma_f64 v[58:59], v[58:59], v[42:43], v[80:81]
	v_fma_f64 v[60:61], v[60:61], v[42:43], -v[44:45]
	ds_read_b128 v[42:45], v26
	v_fma_f64 v[62:63], v[62:63], v[46:47], v[82:83]
	s_waitcnt vmcnt(3) lgkmcnt(3)
	v_mul_f64 v[80:81], v[72:73], v[3:4]
	v_mul_f64 v[3:4], v[70:71], v[3:4]
	v_fma_f64 v[46:47], v[64:65], v[46:47], -v[48:49]
	s_waitcnt vmcnt(2) lgkmcnt(2)
	v_mul_f64 v[48:49], v[76:77], v[7:8]
	v_mul_f64 v[7:8], v[74:75], v[7:8]
	v_subrev_nc_u32_e32 v82, 40, v29
	s_waitcnt vmcnt(0) lgkmcnt(0)
	s_barrier
	buffer_gl0_inv
	v_mul_f64 v[64:65], v[40:41], v[11:12]
	v_mul_f64 v[11:12], v[38:39], v[11:12]
	v_fma_f64 v[66:67], v[66:67], v[50:51], v[78:79]
	v_fma_f64 v[50:51], v[68:69], v[50:51], -v[52:53]
	v_mul_f64 v[52:53], v[19:20], v[15:16]
	v_add_f64 v[68:69], v[42:43], v[54:55]
	v_add_f64 v[78:79], v[44:45], v[56:57]
	v_mul_f64 v[15:16], v[17:18], v[15:16]
	v_fma_f64 v[70:71], v[70:71], v[1:2], v[80:81]
	v_fma_f64 v[72:73], v[72:73], v[1:2], -v[3:4]
	v_fma_f64 v[48:49], v[74:75], v[5:6], v[48:49]
	v_fma_f64 v[5:6], v[76:77], v[5:6], -v[7:8]
	v_add_f64 v[88:89], v[58:59], -v[54:55]
	v_fma_f64 v[7:8], v[38:39], v[9:10], v[64:65]
	v_fma_f64 v[9:10], v[40:41], v[9:10], -v[11:12]
	v_add_f64 v[38:39], v[54:55], v[66:67]
	v_mov_b32_e32 v65, v25
	v_fma_f64 v[11:12], v[17:18], v[13:14], v[52:53]
	v_add_f64 v[1:2], v[68:69], v[58:59]
	v_add_f64 v[3:4], v[78:79], v[60:61]
	;; [unrolled: 1-line block ×3, first 2 shown]
	v_cndmask_b32_e32 v64, v82, v30, vcc_lo
	v_fma_f64 v[13:14], v[19:20], v[13:14], -v[15:16]
	v_add_f64 v[19:20], v[60:61], v[46:47]
	v_add_f64 v[40:41], v[56:57], v[50:51]
	v_add_f64 v[80:81], v[66:67], -v[62:63]
	v_lshlrev_b64 v[15:16], 4, v[64:65]
	v_add_f64 v[82:83], v[56:57], -v[60:61]
	v_add_f64 v[84:85], v[50:51], -v[46:47]
	;; [unrolled: 1-line block ×5, first 2 shown]
	v_add_co_u32 v68, vcc_lo, s8, v15
	v_add_co_ci_u32_e32 v69, vcc_lo, s9, v16, vcc_lo
	v_add_f64 v[15:16], v[54:55], -v[58:59]
	v_add_f64 v[58:59], v[58:59], -v[62:63]
	v_fma_f64 v[38:39], v[38:39], -0.5, v[42:43]
	v_add_f64 v[52:53], v[48:49], v[7:8]
	v_add_f64 v[1:2], v[1:2], v[62:63]
	;; [unrolled: 1-line block ×3, first 2 shown]
	v_add_f64 v[62:63], v[62:63], -v[66:67]
	v_add_f64 v[46:47], v[46:47], -v[50:51]
	v_fma_f64 v[17:18], v[17:18], -0.5, v[42:43]
	v_add_f64 v[42:43], v[21:22], v[70:71]
	v_add_f64 v[74:75], v[5:6], v[9:10]
	;; [unrolled: 1-line block ×4, first 2 shown]
	v_fma_f64 v[19:20], v[19:20], -0.5, v[44:45]
	v_fma_f64 v[40:41], v[40:41], -0.5, v[44:45]
	v_add_f64 v[44:45], v[23:24], v[72:73]
	v_add_f64 v[54:55], v[54:55], -v[66:67]
	v_add_f64 v[82:83], v[82:83], v[84:85]
	v_add_f64 v[84:85], v[7:8], -v[11:12]
	v_cmp_gt_u32_e32 vcc_lo, 0x258, v0
	v_add_f64 v[15:16], v[15:16], v[80:81]
	v_add_f64 v[80:81], v[48:49], -v[70:71]
	v_fma_f64 v[52:53], v[52:53], -0.5, v[21:22]
	v_add_f64 v[1:2], v[1:2], v[66:67]
	v_add_f64 v[3:4], v[3:4], v[50:51]
	;; [unrolled: 1-line block ×3, first 2 shown]
	v_add_f64 v[88:89], v[5:6], -v[72:73]
	v_add_f64 v[46:47], v[56:57], v[46:47]
	v_add_f64 v[56:57], v[9:10], -v[13:14]
	v_add_f64 v[42:43], v[42:43], v[48:49]
	v_fma_f64 v[74:75], v[74:75], -0.5, v[23:24]
	v_fma_f64 v[21:22], v[76:77], -0.5, v[21:22]
	v_fma_f64 v[76:77], v[78:79], -0.5, v[23:24]
	v_add_f64 v[23:24], v[70:71], -v[48:49]
	v_add_f64 v[50:51], v[72:73], -v[5:6]
	v_add_f64 v[44:45], v[44:45], v[5:6]
	v_add_f64 v[70:71], v[70:71], -v[11:12]
	v_fma_f64 v[90:91], v[86:87], s[0:1], v[17:18]
	v_fma_f64 v[17:18], v[86:87], s[12:13], v[17:18]
	v_add_f64 v[72:73], v[72:73], -v[13:14]
	v_add_f64 v[78:79], v[11:12], -v[7:8]
	;; [unrolled: 1-line block ×3, first 2 shown]
	v_add_f64 v[80:81], v[80:81], v[84:85]
	v_fma_f64 v[84:85], v[54:55], s[12:13], v[19:20]
	v_fma_f64 v[19:20], v[54:55], s[0:1], v[19:20]
	v_add_f64 v[5:6], v[5:6], -v[9:10]
	v_add_f64 v[65:66], v[13:14], -v[9:10]
	v_mov_b32_e32 v67, v25
	v_add_f64 v[56:57], v[88:89], v[56:57]
	v_fma_f64 v[88:89], v[60:61], s[12:13], v[38:39]
	v_fma_f64 v[38:39], v[60:61], s[0:1], v[38:39]
	v_add_f64 v[7:8], v[42:43], v[7:8]
	v_fma_f64 v[42:43], v[58:59], s[0:1], v[40:41]
	v_fma_f64 v[40:41], v[58:59], s[12:13], v[40:41]
	;; [unrolled: 3-line block ×3, first 2 shown]
	v_fma_f64 v[60:61], v[72:73], s[0:1], v[52:53]
	v_fma_f64 v[52:53], v[72:73], s[12:13], v[52:53]
	v_add_f64 v[78:79], v[23:24], v[78:79]
	v_subrev_nc_u32_e32 v23, 30, v29
	v_fma_f64 v[84:85], v[58:59], s[18:19], v[84:85]
	v_fma_f64 v[19:20], v[58:59], s[16:17], v[19:20]
	;; [unrolled: 1-line block ×4, first 2 shown]
	v_add_f64 v[50:51], v[50:51], v[65:66]
	v_subrev_nc_u32_e32 v24, 50, v29
	v_cndmask_b32_e32 v66, v23, v32, vcc_lo
	v_cmp_gt_u32_e32 vcc_lo, 0x3e8, v0
	v_fma_f64 v[88:89], v[86:87], s[16:17], v[88:89]
	v_fma_f64 v[38:39], v[86:87], s[18:19], v[38:39]
	;; [unrolled: 1-line block ×8, first 2 shown]
	v_add_nc_u32_e32 v65, 30, v29
	v_subrev_nc_u32_e32 v23, 20, v29
	v_fma_f64 v[60:61], v[5:6], s[16:17], v[60:61]
	v_fma_f64 v[52:53], v[5:6], s[18:19], v[52:53]
	v_cndmask_b32_e32 v24, v24, v29, vcc_lo
	v_cmp_gt_u32_e32 vcc_lo, 0x190, v0
	v_lshlrev_b64 v[5:6], 4, v[66:67]
	v_add_nc_u32_e32 v29, -10, v29
	v_fma_f64 v[58:59], v[48:49], s[18:19], v[58:59]
	v_fma_f64 v[48:49], v[48:49], s[16:17], v[74:75]
	v_cndmask_b32_e32 v90, v23, v65, vcc_lo
	v_cmp_gt_u32_e32 vcc_lo, 0xc8, v0
	v_mov_b32_e32 v91, v25
	v_mad_u32_u24 v23, v36, 50, v37
	v_fma_f64 v[86:87], v[72:73], s[16:17], v[86:87]
	v_cndmask_b32_e32 v92, v29, v95, vcc_lo
	v_mul_u32_u24_e32 v29, 0x140, v34
	v_fma_f64 v[54:55], v[70:71], s[18:19], v[54:55]
	v_fma_f64 v[21:22], v[72:73], s[18:19], v[21:22]
	;; [unrolled: 1-line block ×3, first 2 shown]
	v_add_co_u32 v76, vcc_lo, s8, v5
	v_add_co_ci_u32_e32 v77, vcc_lo, s9, v6, vcc_lo
	v_add_f64 v[5:6], v[7:8], v[11:12]
	v_add_f64 v[7:8], v[9:10], v[13:14]
	v_fma_f64 v[9:10], v[15:16], s[14:15], v[44:45]
	v_fma_f64 v[11:12], v[82:83], s[14:15], v[84:85]
	;; [unrolled: 1-line block ×8, first 2 shown]
	v_lshlrev_b64 v[74:75], 4, v[90:91]
	v_fma_f64 v[38:39], v[78:79], s[14:15], v[60:61]
	v_fma_f64 v[40:41], v[50:51], s[14:15], v[58:59]
	;; [unrolled: 1-line block ×8, first 2 shown]
	v_lshlrev_b64 v[72:73], 4, v[92:93]
	v_lshlrev_b64 v[93:94], 4, v[24:25]
	v_add_co_u32 v21, vcc_lo, s8, v74
	v_add_co_ci_u32_e32 v22, vcc_lo, s9, v75, vcc_lo
	v_mul_u32_u24_e32 v23, 0x140, v23
	v_add_co_u32 v54, vcc_lo, s8, v93
	v_add3_u32 v29, 0, v29, v27
	v_add_co_ci_u32_e32 v55, vcc_lo, s9, v94, vcc_lo
	v_add3_u32 v23, 0, v23, v27
	ds_write_b128 v29, v[1:4]
	ds_write_b128 v29, v[9:12] offset:3200
	ds_write_b128 v29, v[17:20] offset:6400
	;; [unrolled: 1-line block ×4, first 2 shown]
	ds_write_b128 v23, v[5:8]
	ds_write_b128 v23, v[38:41] offset:3200
	ds_write_b128 v23, v[46:49] offset:6400
	;; [unrolled: 1-line block ×4, first 2 shown]
	s_waitcnt lgkmcnt(0)
	s_barrier
	buffer_gl0_inv
	s_clause 0x1
	global_load_dwordx4 v[1:4], v[54:55], off offset:640
	global_load_dwordx4 v[5:8], v[68:69], off offset:640
	v_add_co_u32 v17, vcc_lo, s8, v72
	v_add_co_ci_u32_e32 v18, vcc_lo, s9, v73, vcc_lo
	s_clause 0x2
	global_load_dwordx4 v[9:12], v[76:77], off offset:640
	global_load_dwordx4 v[13:16], v[21:22], off offset:640
	;; [unrolled: 1-line block ×3, first 2 shown]
	v_cmp_lt_u32_e32 vcc_lo, 0x3e7, v0
	v_sub_nc_u32_e32 v21, v30, v64
	v_sub_nc_u32_e32 v22, v32, v66
	v_mul_u32_u24_e32 v23, 0x140, v65
	v_sub_nc_u32_e32 v29, v65, v90
	v_cndmask_b32_e64 v0, 0, 0x64, vcc_lo
	v_add_nc_u32_e32 v38, v21, v30
	v_add_co_u32 v21, s0, s27, v28
	v_add_co_ci_u32_e64 v28, null, 0, 0, s0
	v_add_nc_u32_e32 v0, v24, v0
	v_add_nc_u32_e32 v32, v22, v32
	v_mul_lo_u32 v30, v21, s5
	v_mad_u64_u32 v[21:22], null, v21, s4, 0
	v_mul_lo_u32 v28, v28, s4
	v_mul_lo_u32 v24, v0, s6
	v_sub_nc_u32_e32 v34, v95, v92
	s_mul_i32 s4, s6, 50
	v_add_nc_u32_e32 v82, v29, v65
	v_add3_u32 v0, 0, v23, v27
	s_lshl_b64 s[0:1], s[10:11], 4
	v_add_nc_u32_e32 v83, v34, v95
	v_add3_u32 v22, v22, v30, v28
	ds_read_b128 v[27:30], v26 offset:16000
	ds_read_b128 v[34:37], v26 offset:19200
	v_lshlrev_b64 v[50:51], 4, v[24:25]
	v_add_nc_u32_e32 v24, s4, v24
	v_lshlrev_b64 v[21:22], 4, v[21:22]
	s_add_u32 s0, s0, s2
	s_addc_u32 s1, s1, s3
	v_lshlrev_b64 v[54:55], 4, v[24:25]
	v_mul_lo_u32 v24, v38, s6
	ds_read_b128 v[38:41], v26 offset:22400
	ds_read_b128 v[42:45], v26 offset:25600
	;; [unrolled: 1-line block ×3, first 2 shown]
	v_add_co_u32 v84, vcc_lo, s0, v21
	v_add_co_ci_u32_e32 v85, vcc_lo, s1, v22, vcc_lo
	v_add_co_u32 v58, vcc_lo, v84, v50
	v_lshlrev_b64 v[21:22], 4, v[24:25]
	v_add_co_ci_u32_e32 v59, vcc_lo, v85, v51, vcc_lo
	v_add_nc_u32_e32 v24, s4, v24
	v_add_co_u32 v74, vcc_lo, v84, v54
	v_add_co_ci_u32_e32 v75, vcc_lo, v85, v55, vcc_lo
	ds_read_b128 v[50:53], v26
	v_add_co_u32 v78, vcc_lo, v84, v21
	v_lshlrev_b64 v[60:61], 4, v[24:25]
	v_mul_lo_u32 v24, v32, s6
	v_add_co_ci_u32_e32 v79, vcc_lo, v85, v22, vcc_lo
	v_lshlrev_b64 v[76:77], 4, v[24:25]
	v_add_nc_u32_e32 v24, s4, v24
	v_lshlrev_b64 v[80:81], 4, v[24:25]
	v_mul_lo_u32 v24, v82, s6
	s_waitcnt vmcnt(4) lgkmcnt(5)
	v_mul_f64 v[62:63], v[29:30], v[3:4]
	v_mul_f64 v[3:4], v[27:28], v[3:4]
	s_waitcnt vmcnt(3) lgkmcnt(4)
	v_mul_f64 v[64:65], v[36:37], v[7:8]
	v_mul_f64 v[7:8], v[34:35], v[7:8]
	;; [unrolled: 3-line block ×5, first 2 shown]
	ds_read_b128 v[19:22], v33
	ds_read_b128 v[54:57], v0
	v_fma_f64 v[26:27], v[27:28], v[1:2], v[62:63]
	v_fma_f64 v[28:29], v[29:30], v[1:2], -v[3:4]
	v_fma_f64 v[32:33], v[34:35], v[5:6], v[64:65]
	v_fma_f64 v[34:35], v[36:37], v[5:6], -v[7:8]
	ds_read_b128 v[0:3], v31
	ds_read_b128 v[4:7], v31 offset:6400
	v_fma_f64 v[36:37], v[38:39], v[9:10], v[66:67]
	v_fma_f64 v[38:39], v[40:41], v[9:10], -v[11:12]
	v_fma_f64 v[40:41], v[42:43], v[13:14], v[68:69]
	v_fma_f64 v[42:43], v[44:45], v[13:14], -v[15:16]
	;; [unrolled: 2-line block ×3, first 2 shown]
	v_add_co_u32 v46, vcc_lo, v84, v60
	v_add_co_ci_u32_e32 v47, vcc_lo, v85, v61, vcc_lo
	v_lshlrev_b64 v[60:61], 4, v[24:25]
	v_add_nc_u32_e32 v24, s4, v24
	v_add_co_u32 v48, vcc_lo, v84, v76
	v_add_co_ci_u32_e32 v49, vcc_lo, v85, v77, vcc_lo
	s_waitcnt lgkmcnt(4)
	v_add_f64 v[8:9], v[50:51], -v[26:27]
	v_add_f64 v[10:11], v[52:53], -v[28:29]
	s_waitcnt lgkmcnt(3)
	v_add_f64 v[12:13], v[19:20], -v[32:33]
	v_add_f64 v[14:15], v[21:22], -v[34:35]
	;; [unrolled: 3-line block ×3, first 2 shown]
	v_add_f64 v[30:31], v[54:55], -v[40:41]
	v_add_f64 v[32:33], v[56:57], -v[42:43]
	s_waitcnt lgkmcnt(0)
	v_add_f64 v[34:35], v[4:5], -v[44:45]
	v_add_f64 v[36:37], v[6:7], -v[16:17]
	v_lshlrev_b64 v[42:43], 4, v[24:25]
	v_mul_lo_u32 v24, v83, s6
	v_add_co_u32 v44, vcc_lo, v84, v80
	v_add_co_ci_u32_e32 v45, vcc_lo, v85, v81, vcc_lo
	v_add_co_u32 v60, vcc_lo, v84, v60
	v_add_co_ci_u32_e32 v61, vcc_lo, v85, v61, vcc_lo
	v_fma_f64 v[38:39], v[50:51], 2.0, -v[8:9]
	v_fma_f64 v[40:41], v[52:53], 2.0, -v[10:11]
	;; [unrolled: 1-line block ×4, first 2 shown]
	v_lshlrev_b64 v[62:63], 4, v[24:25]
	v_add_nc_u32_e32 v24, s4, v24
	v_fma_f64 v[0:1], v[0:1], 2.0, -v[26:27]
	v_fma_f64 v[2:3], v[2:3], 2.0, -v[28:29]
	;; [unrolled: 1-line block ×6, first 2 shown]
	v_add_co_u32 v42, vcc_lo, v84, v42
	v_lshlrev_b64 v[24:25], 4, v[24:25]
	v_add_co_ci_u32_e32 v43, vcc_lo, v85, v43, vcc_lo
	v_add_co_u32 v50, vcc_lo, v84, v62
	v_add_co_ci_u32_e32 v51, vcc_lo, v85, v63, vcc_lo
	v_add_co_u32 v24, vcc_lo, v84, v24
	v_add_co_ci_u32_e32 v25, vcc_lo, v85, v25, vcc_lo
	global_store_dwordx4 v[58:59], v[38:41], off
	global_store_dwordx4 v[74:75], v[8:11], off
	;; [unrolled: 1-line block ×10, first 2 shown]
	s_endpgm
	.section	.rodata,"a",@progbits
	.p2align	6, 0x0
	.amdhsa_kernel fft_rtc_back_len100_factors_10_5_2_wgs_200_tpt_10_dim2_dp_op_CI_CI_sbrc_aligned_dirReg
		.amdhsa_group_segment_fixed_size 0
		.amdhsa_private_segment_fixed_size 0
		.amdhsa_kernarg_size 96
		.amdhsa_user_sgpr_count 6
		.amdhsa_user_sgpr_private_segment_buffer 1
		.amdhsa_user_sgpr_dispatch_ptr 0
		.amdhsa_user_sgpr_queue_ptr 0
		.amdhsa_user_sgpr_kernarg_segment_ptr 1
		.amdhsa_user_sgpr_dispatch_id 0
		.amdhsa_user_sgpr_flat_scratch_init 0
		.amdhsa_user_sgpr_private_segment_size 0
		.amdhsa_wavefront_size32 1
		.amdhsa_uses_dynamic_stack 0
		.amdhsa_system_sgpr_private_segment_wavefront_offset 0
		.amdhsa_system_sgpr_workgroup_id_x 1
		.amdhsa_system_sgpr_workgroup_id_y 0
		.amdhsa_system_sgpr_workgroup_id_z 0
		.amdhsa_system_sgpr_workgroup_info 0
		.amdhsa_system_vgpr_workitem_id 0
		.amdhsa_next_free_vgpr 96
		.amdhsa_next_free_sgpr 28
		.amdhsa_reserve_vcc 1
		.amdhsa_reserve_flat_scratch 0
		.amdhsa_float_round_mode_32 0
		.amdhsa_float_round_mode_16_64 0
		.amdhsa_float_denorm_mode_32 3
		.amdhsa_float_denorm_mode_16_64 3
		.amdhsa_dx10_clamp 1
		.amdhsa_ieee_mode 1
		.amdhsa_fp16_overflow 0
		.amdhsa_workgroup_processor_mode 1
		.amdhsa_memory_ordered 1
		.amdhsa_forward_progress 0
		.amdhsa_shared_vgpr_count 0
		.amdhsa_exception_fp_ieee_invalid_op 0
		.amdhsa_exception_fp_denorm_src 0
		.amdhsa_exception_fp_ieee_div_zero 0
		.amdhsa_exception_fp_ieee_overflow 0
		.amdhsa_exception_fp_ieee_underflow 0
		.amdhsa_exception_fp_ieee_inexact 0
		.amdhsa_exception_int_div_zero 0
	.end_amdhsa_kernel
	.text
.Lfunc_end0:
	.size	fft_rtc_back_len100_factors_10_5_2_wgs_200_tpt_10_dim2_dp_op_CI_CI_sbrc_aligned_dirReg, .Lfunc_end0-fft_rtc_back_len100_factors_10_5_2_wgs_200_tpt_10_dim2_dp_op_CI_CI_sbrc_aligned_dirReg
                                        ; -- End function
	.section	.AMDGPU.csdata,"",@progbits
; Kernel info:
; codeLenInByte = 5212
; NumSgprs: 30
; NumVgprs: 96
; ScratchSize: 0
; MemoryBound: 0
; FloatMode: 240
; IeeeMode: 1
; LDSByteSize: 0 bytes/workgroup (compile time only)
; SGPRBlocks: 3
; VGPRBlocks: 11
; NumSGPRsForWavesPerEU: 30
; NumVGPRsForWavesPerEU: 96
; Occupancy: 10
; WaveLimiterHint : 1
; COMPUTE_PGM_RSRC2:SCRATCH_EN: 0
; COMPUTE_PGM_RSRC2:USER_SGPR: 6
; COMPUTE_PGM_RSRC2:TRAP_HANDLER: 0
; COMPUTE_PGM_RSRC2:TGID_X_EN: 1
; COMPUTE_PGM_RSRC2:TGID_Y_EN: 0
; COMPUTE_PGM_RSRC2:TGID_Z_EN: 0
; COMPUTE_PGM_RSRC2:TIDIG_COMP_CNT: 0
	.text
	.p2alignl 6, 3214868480
	.fill 48, 4, 3214868480
	.type	__hip_cuid_40140ce6660f94de,@object ; @__hip_cuid_40140ce6660f94de
	.section	.bss,"aw",@nobits
	.globl	__hip_cuid_40140ce6660f94de
__hip_cuid_40140ce6660f94de:
	.byte	0                               ; 0x0
	.size	__hip_cuid_40140ce6660f94de, 1

	.ident	"AMD clang version 19.0.0git (https://github.com/RadeonOpenCompute/llvm-project roc-6.4.0 25133 c7fe45cf4b819c5991fe208aaa96edf142730f1d)"
	.section	".note.GNU-stack","",@progbits
	.addrsig
	.addrsig_sym __hip_cuid_40140ce6660f94de
	.amdgpu_metadata
---
amdhsa.kernels:
  - .args:
      - .actual_access:  read_only
        .address_space:  global
        .offset:         0
        .size:           8
        .value_kind:     global_buffer
      - .actual_access:  read_only
        .address_space:  global
        .offset:         8
        .size:           8
        .value_kind:     global_buffer
      - .actual_access:  read_only
        .address_space:  global
        .offset:         16
        .size:           8
        .value_kind:     global_buffer
      - .actual_access:  read_only
        .address_space:  global
        .offset:         24
        .size:           8
        .value_kind:     global_buffer
      - .offset:         32
        .size:           8
        .value_kind:     by_value
      - .actual_access:  read_only
        .address_space:  global
        .offset:         40
        .size:           8
        .value_kind:     global_buffer
      - .actual_access:  read_only
        .address_space:  global
        .offset:         48
        .size:           8
        .value_kind:     global_buffer
      - .offset:         56
        .size:           4
        .value_kind:     by_value
      - .actual_access:  read_only
        .address_space:  global
        .offset:         64
        .size:           8
        .value_kind:     global_buffer
      - .actual_access:  read_only
        .address_space:  global
        .offset:         72
        .size:           8
        .value_kind:     global_buffer
      - .actual_access:  read_only
        .address_space:  global
        .offset:         80
        .size:           8
        .value_kind:     global_buffer
      - .actual_access:  write_only
        .address_space:  global
        .offset:         88
        .size:           8
        .value_kind:     global_buffer
    .group_segment_fixed_size: 0
    .kernarg_segment_align: 8
    .kernarg_segment_size: 96
    .language:       OpenCL C
    .language_version:
      - 2
      - 0
    .max_flat_workgroup_size: 200
    .name:           fft_rtc_back_len100_factors_10_5_2_wgs_200_tpt_10_dim2_dp_op_CI_CI_sbrc_aligned_dirReg
    .private_segment_fixed_size: 0
    .sgpr_count:     30
    .sgpr_spill_count: 0
    .symbol:         fft_rtc_back_len100_factors_10_5_2_wgs_200_tpt_10_dim2_dp_op_CI_CI_sbrc_aligned_dirReg.kd
    .uniform_work_group_size: 1
    .uses_dynamic_stack: false
    .vgpr_count:     96
    .vgpr_spill_count: 0
    .wavefront_size: 32
    .workgroup_processor_mode: 1
amdhsa.target:   amdgcn-amd-amdhsa--gfx1030
amdhsa.version:
  - 1
  - 2
...

	.end_amdgpu_metadata
